;; amdgpu-corpus repo=ROCm/aiter kind=harvested arch=n/a opt=n/a

/root/src/amdgpu-assembly/repos/ROCm__aiter/hsa/gfx942/all_reduce.co:	file format elf64-amdgpu

Disassembly of section .text:

0000000000002000 <allreduce_kernel_func>:
	s_and_b32 s1, s1, 0xffff                                   // 000000002000: 8601FF01 0000FFFF
	s_load_dwordx2 s[8:9], s[0:1], 0x0                         // 000000002008: C0060200 00000000
	s_load_dwordx2 s[40:41], s[0:1], 0x10                      // 000000002010: C0060A00 00000010
	s_load_dwordx2 s[42:43], s[0:1], 0x20                      // 000000002018: C0060A80 00000020
	s_load_dwordx2 s[44:45], s[0:1], 0x30                      // 000000002020: C0060B00 00000030
	s_load_dwordx2 s[46:47], s[0:1], 0x40                      // 000000002028: C0060B80 00000040
	s_load_dwordx2 s[48:49], s[0:1], 0x50                      // 000000002030: C0060C00 00000050
	s_load_dwordx2 s[50:51], s[0:1], 0x60                      // 000000002038: C0060C80 00000060
	s_load_dwordx2 s[52:53], s[0:1], 0x70                      // 000000002040: C0060D00 00000070
	s_load_dwordx2 s[54:55], s[0:1], 0x80                      // 000000002048: C0060D80 00000080
	s_load_dword s58, s[0:1], 0x90                             // 000000002050: C0020E80 00000090
	s_load_dword s59, s[0:1], 0xa0                             // 000000002058: C0020EC0 000000A0
	s_load_dword s60, s[0:1], 0xb0                             // 000000002060: C0020F00 000000B0
	s_load_dword s61, s[0:1], 0xc0                             // 000000002068: C0020F40 000000C0
	s_load_dword s6, s[0:1], 0xd0                              // 000000002070: C0020180 000000D0
	v_lshrrev_b32_e32 v1, 10, v0                               // 000000002078: 2002008A
	v_lshrrev_b32_e32 v2, 10, v1                               // 00000000207C: 2004028A
	v_and_b32_e32 v2, 0x3ff, v2                                // 000000002080: 260404FF 000003FF
	v_and_b32_e32 v1, 0x3ff, v1                                // 000000002088: 260202FF 000003FF
	v_and_b32_e32 v0, 0x3ff, v0                                // 000000002090: 260000FF 000003FF
	v_lshrrev_b32_e32 v3, 6, v0                                // 000000002098: 20060086
	v_and_b32_e32 v0, 63, v0                                   // 00000000209C: 260000BF
	s_mov_b32 s2, s2                                           // 0000000020A0: BE820002
	s_mov_b32 s3, s3                                           // 0000000020A4: BE830003
	s_mov_b32 s4, s4                                           // 0000000020A8: BE840004
	v_readfirstlane_b32 s5, v3                                 // 0000000020AC: 7E0A0503
	s_waitcnt lgkmcnt(0)                                       // 0000000020B0: BF8CC07F
	s_and_b32 s9, s9, 0xffff                                   // 0000000020B4: 8609FF09 0000FFFF
	s_load_dwordx2 s[36:37], s[8:9], 0x38                      // 0000000020BC: C0060904 00000038
	s_load_dwordx2 s[32:33], s[8:9], 0x30                      // 0000000020C4: C0060804 00000030
	s_load_dwordx2 s[28:29], s[8:9], 0x28                      // 0000000020CC: C0060704 00000028
	s_load_dwordx2 s[24:25], s[8:9], 0x20                      // 0000000020D4: C0060604 00000020
	s_load_dwordx2 s[20:21], s[8:9], 0x18                      // 0000000020DC: C0060504 00000018
	s_load_dwordx2 s[16:17], s[8:9], 0x10                      // 0000000020E4: C0060404 00000010
	s_load_dwordx2 s[12:13], s[8:9], 0x8                       // 0000000020EC: C0060304 00000008
	s_load_dwordx2 s[8:9], s[8:9], 0x0                         // 0000000020F4: C0060204 00000000
	s_waitcnt lgkmcnt(0)                                       // 0000000020FC: BF8CC07F
	s_mov_b32 s10, 0x80000000                                  // 000000002100: BE8A00FF 80000000
	s_mov_b32 s11, 0x20000                                     // 000000002108: BE8B00FF 00020000
	s_and_b32 s9, s9, 0xffff                                   // 000000002110: 8609FF09 0000FFFF
	s_or_b32 s9, s9, 0x40000                                   // 000000002118: 8709FF09 00040000
	s_and_b32 s41, s41, 0xffff                                 // 000000002120: 8629FF29 0000FFFF
	s_mov_b32 s14, 0x80000000                                  // 000000002128: BE8E00FF 80000000
	s_mov_b32 s15, 0x20000                                     // 000000002130: BE8F00FF 00020000
	s_and_b32 s13, s13, 0xffff                                 // 000000002138: 860DFF0D 0000FFFF
	s_or_b32 s13, s13, 0x40000                                 // 000000002140: 870DFF0D 00040000
	s_and_b32 s43, s43, 0xffff                                 // 000000002148: 862BFF2B 0000FFFF
	s_mov_b32 s18, 0x80000000                                  // 000000002150: BE9200FF 80000000
	s_mov_b32 s19, 0x20000                                     // 000000002158: BE9300FF 00020000
	s_and_b32 s17, s17, 0xffff                                 // 000000002160: 8611FF11 0000FFFF
	s_or_b32 s17, s17, 0x40000                                 // 000000002168: 8711FF11 00040000
	s_and_b32 s45, s45, 0xffff                                 // 000000002170: 862DFF2D 0000FFFF
	s_mov_b32 s22, 0x80000000                                  // 000000002178: BE9600FF 80000000
	s_mov_b32 s23, 0x20000                                     // 000000002180: BE9700FF 00020000
	s_and_b32 s21, s21, 0xffff                                 // 000000002188: 8615FF15 0000FFFF
	s_or_b32 s21, s21, 0x40000                                 // 000000002190: 8715FF15 00040000
	s_and_b32 s47, s47, 0xffff                                 // 000000002198: 862FFF2F 0000FFFF
	s_mov_b32 s26, 0x80000000                                  // 0000000021A0: BE9A00FF 80000000
	s_mov_b32 s27, 0x20000                                     // 0000000021A8: BE9B00FF 00020000
	s_and_b32 s25, s25, 0xffff                                 // 0000000021B0: 8619FF19 0000FFFF
	s_or_b32 s25, s25, 0x40000                                 // 0000000021B8: 8719FF19 00040000
	s_and_b32 s49, s49, 0xffff                                 // 0000000021C0: 8631FF31 0000FFFF
	s_mov_b32 s30, 0x80000000                                  // 0000000021C8: BE9E00FF 80000000
	s_mov_b32 s31, 0x20000                                     // 0000000021D0: BE9F00FF 00020000
	s_and_b32 s29, s29, 0xffff                                 // 0000000021D8: 861DFF1D 0000FFFF
	s_or_b32 s29, s29, 0x40000                                 // 0000000021E0: 871DFF1D 00040000
	s_and_b32 s51, s51, 0xffff                                 // 0000000021E8: 8633FF33 0000FFFF
	s_mov_b32 s34, 0x80000000                                  // 0000000021F0: BEA200FF 80000000
	s_mov_b32 s35, 0x20000                                     // 0000000021F8: BEA300FF 00020000
	s_and_b32 s33, s33, 0xffff                                 // 000000002200: 8621FF21 0000FFFF
	s_or_b32 s33, s33, 0x40000                                 // 000000002208: 8721FF21 00040000
	s_and_b32 s53, s53, 0xffff                                 // 000000002210: 8635FF35 0000FFFF
	s_mov_b32 s38, 0x80000000                                  // 000000002218: BEA600FF 80000000
	s_mov_b32 s39, 0x20000                                     // 000000002220: BEA700FF 00020000
	s_and_b32 s37, s37, 0xffff                                 // 000000002228: 8625FF25 0000FFFF
	s_or_b32 s37, s37, 0x40000                                 // 000000002230: 8725FF25 00040000
	s_and_b32 s55, s55, 0xffff                                 // 000000002238: 8637FF37 0000FFFF
	s_mov_b32 s94, 64                                          // 000000002240: BEDE00C0
	s_mul_i32 s85, s94, 8                                      // 000000002244: 9255885E
	s_mul_i32 s82, s85, s58                                    // 000000002248: 92523A55
	s_mul_i32 s83, s2, 8                                       // 00000000224C: 92538802
	s_add_i32 s86, s82, s83                                    // 000000002250: 81565352
	s_mul_i32 s87, s2, 8                                       // 000000002254: 92578802
	s_mov_b32 s78, 0xfffffff                                   // 000000002258: BECE00FF 0FFFFFFF
	s_mov_b32 s79, 0xff                                        // 000000002260: BECF00FF 000000FF
	s_mov_b32 s80, 1                                           // 000000002268: BED00081
	s_mov_b32 s81, 0x7060302                                   // 00000000226C: BED100FF 07060302
	v_mov_b32_e32 v57, 0xffff0000                              // 000000002274: 7E7202FF FFFF0000
	v_mov_b32_e32 v58, 0x7fff0000                              // 00000000227C: 7E7402FF 7FFF0000
	v_mov_b32_e32 v59, 0x7fff                                  // 000000002284: 7E7602FF 00007FFF
	s_mul_i32 s82, s59, s58                                    // 00000000228C: 92523A3B
	s_mul_i32 s83, s60, s2                                     // 000000002290: 9253023C
	s_mul_i32 s84, s61, s5                                     // 000000002294: 9254053D
	v_mov_b32_e32 v7, v0                                       // 000000002298: 7E0E0300
	v_lshlrev_b32_e32 v7, 4, v7                                // 00000000229C: 240E0E84
	v_add_u32_e32 v7, s82, v7                                  // 0000000022A0: 680E0E52
	v_add_u32_e32 v7, s83, v7                                  // 0000000022A4: 680E0E53
	v_add_u32_e32 v7, s84, v7                                  // 0000000022A8: 680E0E54
	v_mov_b32_e32 v96, v0                                      // 0000000022AC: 7EC00300
	v_lshlrev_b32_e32 v96, 4, v96                              // 0000000022B0: 24C0C084
	v_add_u32_e32 v96, s83, v96                                // 0000000022B4: 68C0C053
	v_add_u32_e32 v96, s84, v96                                // 0000000022B8: 68C0C054
	v_mov_b32_e32 v40, 0                                       // 0000000022BC: 7E500280
	s_mov_b32 s62, 0                                           // 0000000022C0: BEBE0080
	s_mov_b32 s70, 0                                           // 0000000022C4: BEC60080
	v_mov_b32_e32 v41, 0                                       // 0000000022C8: 7E520280
	s_mov_b32 s63, 0                                           // 0000000022CC: BEBF0080
	s_mov_b32 s71, 0                                           // 0000000022D0: BEC70080
	v_mov_b32_e32 v42, 0                                       // 0000000022D4: 7E540280
	s_mov_b32 s64, 0                                           // 0000000022D8: BEC00080
	s_mov_b32 s72, 0                                           // 0000000022DC: BEC80080
	v_mov_b32_e32 v43, 0                                       // 0000000022E0: 7E560280
	s_mov_b32 s65, 0                                           // 0000000022E4: BEC10080
	s_mov_b32 s73, 0                                           // 0000000022E8: BEC90080
	v_mov_b32_e32 v44, 0                                       // 0000000022EC: 7E580280
	s_mov_b32 s66, 0                                           // 0000000022F0: BEC20080
	s_mov_b32 s74, 0                                           // 0000000022F4: BECA0080
	v_mov_b32_e32 v45, 0                                       // 0000000022F8: 7E5A0280
	s_mov_b32 s67, 0                                           // 0000000022FC: BEC30080
	s_mov_b32 s75, 0                                           // 000000002300: BECB0080
	v_mov_b32_e32 v46, 0                                       // 000000002304: 7E5C0280
	s_mov_b32 s68, 0                                           // 000000002308: BEC40080
	s_mov_b32 s76, 0                                           // 00000000230C: BECC0080
	v_mov_b32_e32 v47, 0                                       // 000000002310: 7E5E0280
	s_mov_b32 s69, 0                                           // 000000002314: BEC50080
	s_mov_b32 s77, 0                                           // 000000002318: BECD0080
	v_mov_b32_e32 v8, 0                                        // 00000000231C: 7E100280
	v_mov_b32_e32 v9, 0                                        // 000000002320: 7E120280
	v_mov_b32_e32 v10, 0                                       // 000000002324: 7E140280
	v_mov_b32_e32 v11, 0                                       // 000000002328: 7E160280
	v_mov_b32_e32 v12, 0                                       // 00000000232C: 7E180280
	v_mov_b32_e32 v13, 0                                       // 000000002330: 7E1A0280
	v_mov_b32_e32 v14, 0                                       // 000000002334: 7E1C0280
	v_mov_b32_e32 v15, 0                                       // 000000002338: 7E1E0280
	v_mov_b32_e32 v16, 0                                       // 00000000233C: 7E200280
	v_mov_b32_e32 v17, 0                                       // 000000002340: 7E220280
	v_mov_b32_e32 v18, 0                                       // 000000002344: 7E240280
	v_mov_b32_e32 v19, 0                                       // 000000002348: 7E260280
	v_mov_b32_e32 v20, 0                                       // 00000000234C: 7E280280
	v_mov_b32_e32 v21, 0                                       // 000000002350: 7E2A0280
	v_mov_b32_e32 v22, 0                                       // 000000002354: 7E2C0280
	v_mov_b32_e32 v23, 0                                       // 000000002358: 7E2E0280
	v_mov_b32_e32 v24, 0                                       // 00000000235C: 7E300280
	v_mov_b32_e32 v25, 0                                       // 000000002360: 7E320280
	v_mov_b32_e32 v26, 0                                       // 000000002364: 7E340280
	v_mov_b32_e32 v27, 0                                       // 000000002368: 7E360280
	v_mov_b32_e32 v28, 0                                       // 00000000236C: 7E380280
	v_mov_b32_e32 v29, 0                                       // 000000002370: 7E3A0280
	v_mov_b32_e32 v30, 0                                       // 000000002374: 7E3C0280
	v_mov_b32_e32 v31, 0                                       // 000000002378: 7E3E0280
	v_mov_b32_e32 v32, 0                                       // 00000000237C: 7E400280
	v_mov_b32_e32 v33, 0                                       // 000000002380: 7E420280
	v_mov_b32_e32 v34, 0                                       // 000000002384: 7E440280
	v_mov_b32_e32 v35, 0                                       // 000000002388: 7E460280
	v_mov_b32_e32 v36, 0                                       // 00000000238C: 7E480280
	v_mov_b32_e32 v37, 0                                       // 000000002390: 7E4A0280
	v_mov_b32_e32 v38, 0                                       // 000000002394: 7E4C0280
	v_mov_b32_e32 v39, 0                                       // 000000002398: 7E4E0280
	v_mov_b32_e32 v64, 0                                       // 00000000239C: 7E800280
	v_mov_b32_e32 v65, 0                                       // 0000000023A0: 7E820280
	v_mov_b32_e32 v66, 0                                       // 0000000023A4: 7E840280
	v_mov_b32_e32 v67, 0                                       // 0000000023A8: 7E860280
	v_mov_b32_e32 v68, 0                                       // 0000000023AC: 7E880280
	v_mov_b32_e32 v69, 0                                       // 0000000023B0: 7E8A0280
	v_mov_b32_e32 v70, 0                                       // 0000000023B4: 7E8C0280
	v_mov_b32_e32 v71, 0                                       // 0000000023B8: 7E8E0280
	v_mov_b32_e32 v72, 0                                       // 0000000023BC: 7E900280
	v_mov_b32_e32 v73, 0                                       // 0000000023C0: 7E920280
	v_mov_b32_e32 v74, 0                                       // 0000000023C4: 7E940280
	v_mov_b32_e32 v75, 0                                       // 0000000023C8: 7E960280
	v_mov_b32_e32 v76, 0                                       // 0000000023CC: 7E980280
	v_mov_b32_e32 v77, 0                                       // 0000000023D0: 7E9A0280
	v_mov_b32_e32 v78, 0                                       // 0000000023D4: 7E9C0280
	v_mov_b32_e32 v79, 0                                       // 0000000023D8: 7E9E0280
	v_mov_b32_e32 v80, 0                                       // 0000000023DC: 7EA00280
	v_mov_b32_e32 v81, 0                                       // 0000000023E0: 7EA20280
	v_mov_b32_e32 v82, 0                                       // 0000000023E4: 7EA40280
	v_mov_b32_e32 v83, 0                                       // 0000000023E8: 7EA60280
	v_mov_b32_e32 v84, 0                                       // 0000000023EC: 7EA80280
	v_mov_b32_e32 v85, 0                                       // 0000000023F0: 7EAA0280
	v_mov_b32_e32 v86, 0                                       // 0000000023F4: 7EAC0280
	v_mov_b32_e32 v87, 0                                       // 0000000023F8: 7EAE0280
	v_mov_b32_e32 v88, 0                                       // 0000000023FC: 7EB00280
	v_mov_b32_e32 v89, 0                                       // 000000002400: 7EB20280
	v_mov_b32_e32 v90, 0                                       // 000000002404: 7EB40280
	v_mov_b32_e32 v91, 0                                       // 000000002408: 7EB60280
	v_mov_b32_e32 v92, 0                                       // 00000000240C: 7EB80280
	v_mov_b32_e32 v93, 0                                       // 000000002410: 7EBA0280
	v_mov_b32_e32 v94, 0                                       // 000000002414: 7EBC0280
	v_mov_b32_e32 v95, 0                                       // 000000002418: 7EBE0280
	s_mov_b32 s56, s40                                         // 00000000241C: BEB80028
	s_mov_b32 s57, s41                                         // 000000002420: BEB90029
	s_cmp_eq_u32 s58, 0                                        // 000000002424: BF06803A
	s_cselect_b32 s56, s40, s56                                // 000000002428: 85383828
	s_cselect_b32 s57, s41, s57                                // 00000000242C: 85393929
	s_cmp_eq_u32 s58, 1                                        // 000000002430: BF06813A
	s_cselect_b32 s56, s42, s56                                // 000000002434: 8538382A
	s_cselect_b32 s57, s43, s57                                // 000000002438: 8539392B
	s_cmp_eq_u32 s58, 2                                        // 00000000243C: BF06823A
	s_cselect_b32 s56, s44, s56                                // 000000002440: 8538382C
	s_cselect_b32 s57, s45, s57                                // 000000002444: 8539392D
	s_cmp_eq_u32 s58, 3                                        // 000000002448: BF06833A
	s_cselect_b32 s56, s46, s56                                // 00000000244C: 8538382E
	s_cselect_b32 s57, s47, s57                                // 000000002450: 8539392F
	s_cmp_eq_u32 s58, 4                                        // 000000002454: BF06843A
	s_cselect_b32 s56, s48, s56                                // 000000002458: 85383830
	s_cselect_b32 s57, s49, s57                                // 00000000245C: 85393931
	s_cmp_eq_u32 s58, 5                                        // 000000002460: BF06853A
	s_cselect_b32 s56, s50, s56                                // 000000002464: 85383832
	s_cselect_b32 s57, s51, s57                                // 000000002468: 85393933
	s_cmp_eq_u32 s58, 6                                        // 00000000246C: BF06863A
	s_cselect_b32 s56, s52, s56                                // 000000002470: 85383834
	s_cselect_b32 s57, s53, s57                                // 000000002474: 85393935
	s_cmp_eq_u32 s58, 7                                        // 000000002478: BF06873A
	s_cselect_b32 s56, s54, s56                                // 00000000247C: 85383836
	s_cselect_b32 s57, s55, s57                                // 000000002480: 85393937
	s_mov_b32 s88, s8                                          // 000000002484: BED80008
	s_mov_b32 s89, s9                                          // 000000002488: BED90009
	s_cmp_eq_u32 s58, 0                                        // 00000000248C: BF06803A
	s_cselect_b32 s88, s8, s88                                 // 000000002490: 85585808
	s_cselect_b32 s89, s9, s89                                 // 000000002494: 85595909
	s_cmp_eq_u32 s58, 1                                        // 000000002498: BF06813A
	s_cselect_b32 s88, s12, s88                                // 00000000249C: 8558580C
	s_cselect_b32 s89, s13, s89                                // 0000000024A0: 8559590D
	s_cmp_eq_u32 s58, 2                                        // 0000000024A4: BF06823A
	s_cselect_b32 s88, s16, s88                                // 0000000024A8: 85585810
	s_cselect_b32 s89, s17, s89                                // 0000000024AC: 85595911
	s_cmp_eq_u32 s58, 3                                        // 0000000024B0: BF06833A
	s_cselect_b32 s88, s20, s88                                // 0000000024B4: 85585814
	s_cselect_b32 s89, s21, s89                                // 0000000024B8: 85595915
	s_cmp_eq_u32 s58, 4                                        // 0000000024BC: BF06843A
	s_cselect_b32 s88, s24, s88                                // 0000000024C0: 85585818
	s_cselect_b32 s89, s25, s89                                // 0000000024C4: 85595919
	s_cmp_eq_u32 s58, 5                                        // 0000000024C8: BF06853A
	s_cselect_b32 s88, s28, s88                                // 0000000024CC: 8558581C
	s_cselect_b32 s89, s29, s89                                // 0000000024D0: 8559591D
	s_cmp_eq_u32 s58, 6                                        // 0000000024D4: BF06863A
	s_cselect_b32 s88, s32, s88                                // 0000000024D8: 85585820
	s_cselect_b32 s89, s33, s89                                // 0000000024DC: 85595921
	s_cmp_eq_u32 s58, 7                                        // 0000000024E0: BF06873A
	s_cselect_b32 s88, s36, s88                                // 0000000024E4: 85585824
	s_cselect_b32 s89, s37, s89                                // 0000000024E8: 85595925
	s_mov_b32 s90, 0x80000000                                  // 0000000024EC: BEDA00FF 80000000
	s_mov_b32 s91, 0x20000                                     // 0000000024F4: BEDB00FF 00020000
	s_cmp_eq_u32 s5, 0                                         // 0000000024FC: BF068005
	s_cbranch_scc0 label_0153                                  // 000000002500: BF840012
	s_cmp_eq_u32 s2, 0                                         // 000000002504: BF068002
	s_cbranch_scc0 label_0153                                  // 000000002508: BF840010
	s_atomic_inc s78, s[40:41], s86                            // 00000000250C: C22C1394 00000056
	s_atomic_inc s78, s[42:43], s86                            // 000000002514: C22C1395 00000056
	s_atomic_inc s78, s[44:45], s86                            // 00000000251C: C22C1396 00000056
	s_atomic_inc s78, s[46:47], s86                            // 000000002524: C22C1397 00000056
	s_atomic_inc s78, s[48:49], s86                            // 00000000252C: C22C1398 00000056
	s_atomic_inc s78, s[50:51], s86                            // 000000002534: C22C1399 00000056
	s_atomic_inc s78, s[52:53], s86                            // 00000000253C: C22C139A 00000056
	s_atomic_inc s78, s[54:55], s86                            // 000000002544: C22C139B 00000056

000000000000254c <label_0153>:
	s_cmp_eq_u32 s79, 0                                        // 00000000254C: BF06804F
	s_cbranch_scc1 label_01D5                                  // 000000002550: BF850080
	s_mov_b32 s7, 0                                            // 000000002554: BE870080

0000000000002558 <label_0156>:
	s_nop 15                                                   // 000000002558: BF80000F
	s_addk_i32 s7, 0x1                                         // 00000000255C: B7070001
	s_cmp_lt_i32 s7, s6                                        // 000000002560: BF040607
	s_cbranch_scc0 label_015B                                  // 000000002564: BF840001
	s_branch label_0156                                        // 000000002568: BF82FFFB

000000000000256c <label_015B>:
	s_cmp_ge_u32 s62, 0                                        // 00000000256C: BF09803E
	s_cbranch_scc1 label_0160                                  // 000000002570: BF850003
	s_mul_i32 s82, s85, 0                                      // 000000002574: 92528055
	s_load_dword s62, s[56:57], s83 glc                        // 000000002578: C0010F9C 00000053

0000000000002580 <label_0160>:
	s_cmp_ge_u32 s63, 0                                        // 000000002580: BF09803F
	s_cbranch_scc1 label_0165                                  // 000000002584: BF850003
	s_mul_i32 s82, s85, 1                                      // 000000002588: 92528155
	s_load_dword s63, s[56:57], s83 glc                        // 00000000258C: C0010FDC 00000053

0000000000002594 <label_0165>:
	s_cmp_ge_u32 s64, 0                                        // 000000002594: BF098040
	s_cbranch_scc1 label_016A                                  // 000000002598: BF850003
	s_mul_i32 s82, s85, 2                                      // 00000000259C: 92528255
	s_load_dword s64, s[56:57], s83 glc                        // 0000000025A0: C001101C 00000053

00000000000025a8 <label_016A>:
	s_cmp_ge_u32 s65, 0                                        // 0000000025A8: BF098041
	s_cbranch_scc1 label_016F                                  // 0000000025AC: BF850003
	s_mul_i32 s82, s85, 3                                      // 0000000025B0: 92528355
	s_load_dword s65, s[56:57], s83 glc                        // 0000000025B4: C001105C 00000053

00000000000025bc <label_016F>:
	s_cmp_ge_u32 s66, 0                                        // 0000000025BC: BF098042
	s_cbranch_scc1 label_0174                                  // 0000000025C0: BF850003
	s_mul_i32 s82, s85, 4                                      // 0000000025C4: 92528455
	s_load_dword s66, s[56:57], s83 glc                        // 0000000025C8: C001109C 00000053

00000000000025d0 <label_0174>:
	s_cmp_ge_u32 s67, 0                                        // 0000000025D0: BF098043
	s_cbranch_scc1 label_0179                                  // 0000000025D4: BF850003
	s_mul_i32 s82, s85, 5                                      // 0000000025D8: 92528555
	s_load_dword s67, s[56:57], s83 glc                        // 0000000025DC: C00110DC 00000053

00000000000025e4 <label_0179>:
	s_cmp_ge_u32 s68, 0                                        // 0000000025E4: BF098044
	s_cbranch_scc1 label_017E                                  // 0000000025E8: BF850003
	s_mul_i32 s82, s85, 6                                      // 0000000025EC: 92528655
	s_load_dword s68, s[56:57], s83 glc                        // 0000000025F0: C001111C 00000053

00000000000025f8 <label_017E>:
	s_cmp_ge_u32 s69, 0                                        // 0000000025F8: BF098045
	s_cbranch_scc1 label_0183                                  // 0000000025FC: BF850003
	s_mul_i32 s82, s85, 7                                      // 000000002600: 92528755
	s_load_dword s69, s[56:57], s83 glc                        // 000000002604: C001115C 00000053

000000000000260c <label_0183>:
	s_waitcnt lgkmcnt(0)                                       // 00000000260C: BF8CC07F
	s_lshl_b32 s82, s80, 0                                     // 000000002610: 8E528050
	s_nor_b32 s83, s82, 0                                      // 000000002614: 8C538052
	s_and_b32 s84, s82, s79                                    // 000000002618: 86544F52
	s_cmp_eq_u32 s84, 0                                        // 00000000261C: BF068054
	s_cbranch_scc1 label_018E                                  // 000000002620: BF850005
	s_cmp_ge_u32 s62, 0                                        // 000000002624: BF09803E
	s_cbranch_scc0 label_018E                                  // 000000002628: BF840003
	s_and_b32 s79, s83, s79                                    // 00000000262C: 864F4F53
	buffer_load_dwordx4 v[8:11], v7, s[8:11], 0 offen          // 000000002630: E05C1000 80020807

0000000000002638 <label_018E>:
	s_lshl_b32 s82, s80, 1                                     // 000000002638: 8E528150
	s_nor_b32 s83, s82, 0                                      // 00000000263C: 8C538052
	s_and_b32 s84, s82, s79                                    // 000000002640: 86544F52
	s_cmp_eq_u32 s84, 0                                        // 000000002644: BF068054
	s_cbranch_scc1 label_0198                                  // 000000002648: BF850005
	s_cmp_ge_u32 s63, 0                                        // 00000000264C: BF09803F
	s_cbranch_scc0 label_0198                                  // 000000002650: BF840003
	s_and_b32 s79, s83, s79                                    // 000000002654: 864F4F53
	buffer_load_dwordx4 v[12:15], v7, s[12:15], 0 offen        // 000000002658: E05C1000 80030C07

0000000000002660 <label_0198>:
	s_lshl_b32 s82, s80, 2                                     // 000000002660: 8E528250
	s_nor_b32 s83, s82, 0                                      // 000000002664: 8C538052
	s_and_b32 s84, s82, s79                                    // 000000002668: 86544F52
	s_cmp_eq_u32 s84, 0                                        // 00000000266C: BF068054
	s_cbranch_scc1 label_01A2                                  // 000000002670: BF850005
	s_cmp_ge_u32 s64, 0                                        // 000000002674: BF098040
	s_cbranch_scc0 label_01A2                                  // 000000002678: BF840003
	s_and_b32 s79, s83, s79                                    // 00000000267C: 864F4F53
	buffer_load_dwordx4 v[16:19], v7, s[16:19], 0 offen        // 000000002680: E05C1000 80041007

0000000000002688 <label_01A2>:
	s_lshl_b32 s82, s80, 3                                     // 000000002688: 8E528350
	s_nor_b32 s83, s82, 0                                      // 00000000268C: 8C538052
	s_and_b32 s84, s82, s79                                    // 000000002690: 86544F52
	s_cmp_eq_u32 s84, 0                                        // 000000002694: BF068054
	s_cbranch_scc1 label_01AC                                  // 000000002698: BF850005
	s_cmp_ge_u32 s65, 0                                        // 00000000269C: BF098041
	s_cbranch_scc0 label_01AC                                  // 0000000026A0: BF840003
	s_and_b32 s79, s83, s79                                    // 0000000026A4: 864F4F53
	buffer_load_dwordx4 v[20:23], v7, s[20:23], 0 offen        // 0000000026A8: E05C1000 80051407

00000000000026b0 <label_01AC>:
	s_lshl_b32 s82, s80, 4                                     // 0000000026B0: 8E528450
	s_nor_b32 s83, s82, 0                                      // 0000000026B4: 8C538052
	s_and_b32 s84, s82, s79                                    // 0000000026B8: 86544F52
	s_cmp_eq_u32 s84, 0                                        // 0000000026BC: BF068054
	s_cbranch_scc1 label_01B6                                  // 0000000026C0: BF850005
	s_cmp_ge_u32 s66, 0                                        // 0000000026C4: BF098042
	s_cbranch_scc0 label_01B6                                  // 0000000026C8: BF840003
	s_and_b32 s79, s83, s79                                    // 0000000026CC: 864F4F53
	buffer_load_dwordx4 v[24:27], v7, s[24:27], 0 offen        // 0000000026D0: E05C1000 80061807

00000000000026d8 <label_01B6>:
	s_lshl_b32 s82, s80, 5                                     // 0000000026D8: 8E528550
	s_nor_b32 s83, s82, 0                                      // 0000000026DC: 8C538052
	s_and_b32 s84, s82, s79                                    // 0000000026E0: 86544F52
	s_cmp_eq_u32 s84, 0                                        // 0000000026E4: BF068054
	s_cbranch_scc1 label_01C0                                  // 0000000026E8: BF850005
	s_cmp_ge_u32 s67, 0                                        // 0000000026EC: BF098043
	s_cbranch_scc0 label_01C0                                  // 0000000026F0: BF840003
	s_and_b32 s79, s83, s79                                    // 0000000026F4: 864F4F53
	buffer_load_dwordx4 v[28:31], v7, s[28:31], 0 offen        // 0000000026F8: E05C1000 80071C07

0000000000002700 <label_01C0>:
	s_lshl_b32 s82, s80, 6                                     // 000000002700: 8E528650
	s_nor_b32 s83, s82, 0                                      // 000000002704: 8C538052
	s_and_b32 s84, s82, s79                                    // 000000002708: 86544F52
	s_cmp_eq_u32 s84, 0                                        // 00000000270C: BF068054
	s_cbranch_scc1 label_01CA                                  // 000000002710: BF850005
	s_cmp_ge_u32 s68, 0                                        // 000000002714: BF098044
	s_cbranch_scc0 label_01CA                                  // 000000002718: BF840003
	s_and_b32 s79, s83, s79                                    // 00000000271C: 864F4F53
	buffer_load_dwordx4 v[32:35], v7, s[32:35], 0 offen        // 000000002720: E05C1000 80082007

0000000000002728 <label_01CA>:
	s_lshl_b32 s82, s80, 7                                     // 000000002728: 8E528750
	s_nor_b32 s83, s82, 0                                      // 00000000272C: 8C538052
	s_and_b32 s84, s82, s79                                    // 000000002730: 86544F52
	s_cmp_eq_u32 s84, 0                                        // 000000002734: BF068054
	s_cbranch_scc1 label_01D4                                  // 000000002738: BF850005
	s_cmp_ge_u32 s69, 0                                        // 00000000273C: BF098045
	s_cbranch_scc0 label_01D4                                  // 000000002740: BF840003
	s_and_b32 s79, s83, s79                                    // 000000002744: 864F4F53
	buffer_load_dwordx4 v[36:39], v7, s[36:39], 0 offen        // 000000002748: E05C1000 80092407

0000000000002750 <label_01D4>:
	s_branch label_0153                                        // 000000002750: BF82FF7E

0000000000002754 <label_01D5>:
	s_waitcnt vmcnt(0) expcnt(0) lgkmcnt(0)                    // 000000002754: BF8C0000
	v_and_b32_e32 v49, 0xffff0000, v8                          // 000000002758: 266210FF FFFF0000
	v_lshlrev_b32_e32 v48, 16, v8                              // 000000002760: 24601090
	v_and_b32_e32 v51, 0xffff0000, v9                          // 000000002764: 266612FF FFFF0000
	v_lshlrev_b32_e32 v50, 16, v9                              // 00000000276C: 24641290
	v_and_b32_e32 v53, 0xffff0000, v10                         // 000000002770: 266A14FF FFFF0000
	v_lshlrev_b32_e32 v52, 16, v10                             // 000000002778: 24681490
	v_and_b32_e32 v55, 0xffff0000, v11                         // 00000000277C: 266E16FF FFFF0000
	v_lshlrev_b32_e32 v54, 16, v11                             // 000000002784: 246C1690
	v_add_f32_e32 v40, v48, v40                                // 000000002788: 02505130
	v_add_f32_e32 v41, v49, v41                                // 00000000278C: 02525331
	v_add_f32_e32 v42, v50, v42                                // 000000002790: 02545532
	v_add_f32_e32 v43, v51, v43                                // 000000002794: 02565733
	v_add_f32_e32 v44, v52, v44                                // 000000002798: 02585934
	v_add_f32_e32 v45, v53, v45                                // 00000000279C: 025A5B35
	v_add_f32_e32 v46, v54, v46                                // 0000000027A0: 025C5D36
	v_add_f32_e32 v47, v55, v47                                // 0000000027A4: 025E5F37
	v_and_b32_e32 v49, 0xffff0000, v12                         // 0000000027A8: 266218FF FFFF0000
	v_lshlrev_b32_e32 v48, 16, v12                             // 0000000027B0: 24601890
	v_and_b32_e32 v51, 0xffff0000, v13                         // 0000000027B4: 26661AFF FFFF0000
	v_lshlrev_b32_e32 v50, 16, v13                             // 0000000027BC: 24641A90
	v_and_b32_e32 v53, 0xffff0000, v14                         // 0000000027C0: 266A1CFF FFFF0000
	v_lshlrev_b32_e32 v52, 16, v14                             // 0000000027C8: 24681C90
	v_and_b32_e32 v55, 0xffff0000, v15                         // 0000000027CC: 266E1EFF FFFF0000
	v_lshlrev_b32_e32 v54, 16, v15                             // 0000000027D4: 246C1E90
	v_add_f32_e32 v40, v48, v40                                // 0000000027D8: 02505130
	v_add_f32_e32 v41, v49, v41                                // 0000000027DC: 02525331
	v_add_f32_e32 v42, v50, v42                                // 0000000027E0: 02545532
	v_add_f32_e32 v43, v51, v43                                // 0000000027E4: 02565733
	v_add_f32_e32 v44, v52, v44                                // 0000000027E8: 02585934
	v_add_f32_e32 v45, v53, v45                                // 0000000027EC: 025A5B35
	v_add_f32_e32 v46, v54, v46                                // 0000000027F0: 025C5D36
	v_add_f32_e32 v47, v55, v47                                // 0000000027F4: 025E5F37
	v_and_b32_e32 v49, 0xffff0000, v16                         // 0000000027F8: 266220FF FFFF0000
	v_lshlrev_b32_e32 v48, 16, v16                             // 000000002800: 24602090
	v_and_b32_e32 v51, 0xffff0000, v17                         // 000000002804: 266622FF FFFF0000
	v_lshlrev_b32_e32 v50, 16, v17                             // 00000000280C: 24642290
	v_and_b32_e32 v53, 0xffff0000, v18                         // 000000002810: 266A24FF FFFF0000
	v_lshlrev_b32_e32 v52, 16, v18                             // 000000002818: 24682490
	v_and_b32_e32 v55, 0xffff0000, v19                         // 00000000281C: 266E26FF FFFF0000
	v_lshlrev_b32_e32 v54, 16, v19                             // 000000002824: 246C2690
	v_add_f32_e32 v40, v48, v40                                // 000000002828: 02505130
	v_add_f32_e32 v41, v49, v41                                // 00000000282C: 02525331
	v_add_f32_e32 v42, v50, v42                                // 000000002830: 02545532
	v_add_f32_e32 v43, v51, v43                                // 000000002834: 02565733
	;; [unrolled: 1-line block ×3, first 2 shown]
	v_add_f32_e32 v45, v53, v45                                // 00000000283C: 025A5B35
	v_add_f32_e32 v46, v54, v46                                // 000000002840: 025C5D36
	v_add_f32_e32 v47, v55, v47                                // 000000002844: 025E5F37
	v_and_b32_e32 v49, 0xffff0000, v20                         // 000000002848: 266228FF FFFF0000
	v_lshlrev_b32_e32 v48, 16, v20                             // 000000002850: 24602890
	v_and_b32_e32 v51, 0xffff0000, v21                         // 000000002854: 26662AFF FFFF0000
	v_lshlrev_b32_e32 v50, 16, v21                             // 00000000285C: 24642A90
	v_and_b32_e32 v53, 0xffff0000, v22                         // 000000002860: 266A2CFF FFFF0000
	v_lshlrev_b32_e32 v52, 16, v22                             // 000000002868: 24682C90
	v_and_b32_e32 v55, 0xffff0000, v23                         // 00000000286C: 266E2EFF FFFF0000
	v_lshlrev_b32_e32 v54, 16, v23                             // 000000002874: 246C2E90
	v_add_f32_e32 v40, v48, v40                                // 000000002878: 02505130
	v_add_f32_e32 v41, v49, v41                                // 00000000287C: 02525331
	v_add_f32_e32 v42, v50, v42                                // 000000002880: 02545532
	v_add_f32_e32 v43, v51, v43                                // 000000002884: 02565733
	;; [unrolled: 1-line block ×3, first 2 shown]
	v_add_f32_e32 v45, v53, v45                                // 00000000288C: 025A5B35
	v_add_f32_e32 v46, v54, v46                                // 000000002890: 025C5D36
	v_add_f32_e32 v47, v55, v47                                // 000000002894: 025E5F37
	v_and_b32_e32 v49, 0xffff0000, v24                         // 000000002898: 266230FF FFFF0000
	v_lshlrev_b32_e32 v48, 16, v24                             // 0000000028A0: 24603090
	v_and_b32_e32 v51, 0xffff0000, v25                         // 0000000028A4: 266632FF FFFF0000
	v_lshlrev_b32_e32 v50, 16, v25                             // 0000000028AC: 24643290
	v_and_b32_e32 v53, 0xffff0000, v26                         // 0000000028B0: 266A34FF FFFF0000
	v_lshlrev_b32_e32 v52, 16, v26                             // 0000000028B8: 24683490
	v_and_b32_e32 v55, 0xffff0000, v27                         // 0000000028BC: 266E36FF FFFF0000
	v_lshlrev_b32_e32 v54, 16, v27                             // 0000000028C4: 246C3690
	v_add_f32_e32 v40, v48, v40                                // 0000000028C8: 02505130
	v_add_f32_e32 v41, v49, v41                                // 0000000028CC: 02525331
	v_add_f32_e32 v42, v50, v42                                // 0000000028D0: 02545532
	v_add_f32_e32 v43, v51, v43                                // 0000000028D4: 02565733
	v_add_f32_e32 v44, v52, v44                                // 0000000028D8: 02585934
	v_add_f32_e32 v45, v53, v45                                // 0000000028DC: 025A5B35
	v_add_f32_e32 v46, v54, v46                                // 0000000028E0: 025C5D36
	v_add_f32_e32 v47, v55, v47                                // 0000000028E4: 025E5F37
	v_and_b32_e32 v49, 0xffff0000, v28                         // 0000000028E8: 266238FF FFFF0000
	v_lshlrev_b32_e32 v48, 16, v28                             // 0000000028F0: 24603890
	v_and_b32_e32 v51, 0xffff0000, v29                         // 0000000028F4: 26663AFF FFFF0000
	v_lshlrev_b32_e32 v50, 16, v29                             // 0000000028FC: 24643A90
	v_and_b32_e32 v53, 0xffff0000, v30                         // 000000002900: 266A3CFF FFFF0000
	v_lshlrev_b32_e32 v52, 16, v30                             // 000000002908: 24683C90
	v_and_b32_e32 v55, 0xffff0000, v31                         // 00000000290C: 266E3EFF FFFF0000
	v_lshlrev_b32_e32 v54, 16, v31                             // 000000002914: 246C3E90
	v_add_f32_e32 v40, v48, v40                                // 000000002918: 02505130
	v_add_f32_e32 v41, v49, v41                                // 00000000291C: 02525331
	v_add_f32_e32 v42, v50, v42                                // 000000002920: 02545532
	v_add_f32_e32 v43, v51, v43                                // 000000002924: 02565733
	;; [unrolled: 1-line block ×3, first 2 shown]
	v_add_f32_e32 v45, v53, v45                                // 00000000292C: 025A5B35
	v_add_f32_e32 v46, v54, v46                                // 000000002930: 025C5D36
	v_add_f32_e32 v47, v55, v47                                // 000000002934: 025E5F37
	v_and_b32_e32 v49, 0xffff0000, v32                         // 000000002938: 266240FF FFFF0000
	v_lshlrev_b32_e32 v48, 16, v32                             // 000000002940: 24604090
	v_and_b32_e32 v51, 0xffff0000, v33                         // 000000002944: 266642FF FFFF0000
	v_lshlrev_b32_e32 v50, 16, v33                             // 00000000294C: 24644290
	v_and_b32_e32 v53, 0xffff0000, v34                         // 000000002950: 266A44FF FFFF0000
	v_lshlrev_b32_e32 v52, 16, v34                             // 000000002958: 24684490
	v_and_b32_e32 v55, 0xffff0000, v35                         // 00000000295C: 266E46FF FFFF0000
	v_lshlrev_b32_e32 v54, 16, v35                             // 000000002964: 246C4690
	v_add_f32_e32 v40, v48, v40                                // 000000002968: 02505130
	v_add_f32_e32 v41, v49, v41                                // 00000000296C: 02525331
	v_add_f32_e32 v42, v50, v42                                // 000000002970: 02545532
	v_add_f32_e32 v43, v51, v43                                // 000000002974: 02565733
	;; [unrolled: 1-line block ×3, first 2 shown]
	v_add_f32_e32 v45, v53, v45                                // 00000000297C: 025A5B35
	v_add_f32_e32 v46, v54, v46                                // 000000002980: 025C5D36
	v_add_f32_e32 v47, v55, v47                                // 000000002984: 025E5F37
	v_and_b32_e32 v49, 0xffff0000, v36                         // 000000002988: 266248FF FFFF0000
	v_lshlrev_b32_e32 v48, 16, v36                             // 000000002990: 24604890
	v_and_b32_e32 v51, 0xffff0000, v37                         // 000000002994: 26664AFF FFFF0000
	v_lshlrev_b32_e32 v50, 16, v37                             // 00000000299C: 24644A90
	v_and_b32_e32 v53, 0xffff0000, v38                         // 0000000029A0: 266A4CFF FFFF0000
	v_lshlrev_b32_e32 v52, 16, v38                             // 0000000029A8: 24684C90
	v_and_b32_e32 v55, 0xffff0000, v39                         // 0000000029AC: 266E4EFF FFFF0000
	v_lshlrev_b32_e32 v54, 16, v39                             // 0000000029B4: 246C4E90
	v_add_f32_e32 v40, v48, v40                                // 0000000029B8: 02505130
	v_add_f32_e32 v41, v49, v41                                // 0000000029BC: 02525331
	v_add_f32_e32 v42, v50, v42                                // 0000000029C0: 02545532
	v_add_f32_e32 v43, v51, v43                                // 0000000029C4: 02565733
	v_add_f32_e32 v44, v52, v44                                // 0000000029C8: 02585934
	v_add_f32_e32 v45, v53, v45                                // 0000000029CC: 025A5B35
	v_add_f32_e32 v46, v54, v46                                // 0000000029D0: 025C5D36
	v_add_f32_e32 v47, v55, v47                                // 0000000029D4: 025E5F37
	v_cmp_u_f32_e64 s[92:93], v40, v40                         // 0000000029D8: D048005C 00025128
	v_add3_u32 v56, v40, v59, 1                                // 0000000029E0: D1FF0038 02067728
	v_cndmask_b32_e64 v60, v56, v58, s[92:93]                  // 0000000029E8: D100003C 01727538
	v_cmp_u_f32_e64 s[92:93], v41, v41                         // 0000000029F0: D048005C 00025329
	v_add3_u32 v56, v41, v59, 1                                // 0000000029F8: D1FF0038 02067729
	v_cndmask_b32_e64 v61, v56, v58, s[92:93]                  // 000000002A00: D100003D 01727538
	v_perm_b32 v48, v61, v60, s81                              // 000000002A08: D1ED0030 0146793D
	v_cmp_u_f32_e64 s[92:93], v42, v42                         // 000000002A10: D048005C 0002552A
	v_add3_u32 v56, v42, v59, 1                                // 000000002A18: D1FF0038 0206772A
	v_cndmask_b32_e64 v60, v56, v58, s[92:93]                  // 000000002A20: D100003C 01727538
	v_cmp_u_f32_e64 s[92:93], v43, v43                         // 000000002A28: D048005C 0002572B
	v_add3_u32 v56, v43, v59, 1                                // 000000002A30: D1FF0038 0206772B
	v_cndmask_b32_e64 v61, v56, v58, s[92:93]                  // 000000002A38: D100003D 01727538
	v_perm_b32 v49, v61, v60, s81                              // 000000002A40: D1ED0031 0146793D
	v_cmp_u_f32_e64 s[92:93], v44, v44                         // 000000002A48: D048005C 0002592C
	v_add3_u32 v56, v44, v59, 1                                // 000000002A50: D1FF0038 0206772C
	v_cndmask_b32_e64 v60, v56, v58, s[92:93]                  // 000000002A58: D100003C 01727538
	v_cmp_u_f32_e64 s[92:93], v45, v45                         // 000000002A60: D048005C 00025B2D
	v_add3_u32 v56, v45, v59, 1                                // 000000002A68: D1FF0038 0206772D
	v_cndmask_b32_e64 v61, v56, v58, s[92:93]                  // 000000002A70: D100003D 01727538
	v_perm_b32 v50, v61, v60, s81                              // 000000002A78: D1ED0032 0146793D
	v_cmp_u_f32_e64 s[92:93], v46, v46                         // 000000002A80: D048005C 00025D2E
	v_add3_u32 v56, v46, v59, 1                                // 000000002A88: D1FF0038 0206772E
	v_cndmask_b32_e64 v60, v56, v58, s[92:93]                  // 000000002A90: D100003C 01727538
	v_cmp_u_f32_e64 s[92:93], v47, v47                         // 000000002A98: D048005C 00025F2F
	v_add3_u32 v56, v47, v59, 1                                // 000000002AA0: D1FF0038 0206772F
	v_cndmask_b32_e64 v61, v56, v58, s[92:93]                  // 000000002AA8: D100003D 01727538
	v_perm_b32 v51, v61, v60, s81                              // 000000002AB0: D1ED0033 0146793D
	buffer_store_dwordx4 v[48:51], v7, s[8:11], 0 offen        // 000000002AB8: E07C1000 80023007
	buffer_store_dwordx4 v[48:51], v7, s[12:15], 0 offen       // 000000002AC0: E07C1000 80033007
	buffer_store_dwordx4 v[48:51], v7, s[16:19], 0 offen       // 000000002AC8: E07C1000 80043007
	buffer_store_dwordx4 v[48:51], v7, s[20:23], 0 offen       // 000000002AD0: E07C1000 80053007
	buffer_store_dwordx4 v[48:51], v7, s[24:27], 0 offen       // 000000002AD8: E07C1000 80063007
	buffer_store_dwordx4 v[48:51], v7, s[28:31], 0 offen       // 000000002AE0: E07C1000 80073007
	buffer_store_dwordx4 v[48:51], v7, s[32:35], 0 offen       // 000000002AE8: E07C1000 80083007
	buffer_store_dwordx4 v[48:51], v7, s[36:39], 0 offen       // 000000002AF0: E07C1000 80093007
	s_waitcnt vmcnt(7)                                         // 000000002AF8: BF8C0F77
	s_add_i32 s82, s86, 4                                      // 000000002AFC: 81528456
	s_atomic_inc s78, s[40:41], s82                            // 000000002B00: C22C1394 00000052
	s_waitcnt vmcnt(6)                                         // 000000002B08: BF8C0F76
	s_add_i32 s82, s86, 4                                      // 000000002B0C: 81528456
	s_atomic_inc s78, s[42:43], s82                            // 000000002B10: C22C1395 00000052
	s_waitcnt vmcnt(5)                                         // 000000002B18: BF8C0F75
	s_add_i32 s82, s86, 4                                      // 000000002B1C: 81528456
	s_atomic_inc s78, s[44:45], s82                            // 000000002B20: C22C1396 00000052
	s_waitcnt vmcnt(4)                                         // 000000002B28: BF8C0F74
	s_add_i32 s82, s86, 4                                      // 000000002B2C: 81528456
	s_atomic_inc s78, s[46:47], s82                            // 000000002B30: C22C1397 00000052
	s_waitcnt vmcnt(3)                                         // 000000002B38: BF8C0F73
	s_add_i32 s82, s86, 4                                      // 000000002B3C: 81528456
	s_atomic_inc s78, s[48:49], s82                            // 000000002B40: C22C1398 00000052
	s_waitcnt vmcnt(2)                                         // 000000002B48: BF8C0F72
	s_add_i32 s82, s86, 4                                      // 000000002B4C: 81528456
	s_atomic_inc s78, s[50:51], s82                            // 000000002B50: C22C1399 00000052
	s_waitcnt vmcnt(1)                                         // 000000002B58: BF8C0F71
	s_add_i32 s82, s86, 4                                      // 000000002B5C: 81528456
	s_atomic_inc s78, s[52:53], s82                            // 000000002B60: C22C139A 00000052
	s_waitcnt vmcnt(0)                                         // 000000002B68: BF8C0F70
	s_add_i32 s82, s86, 4                                      // 000000002B6C: 81528456
	s_atomic_inc s78, s[54:55], s82                            // 000000002B70: C22C139B 00000052
	s_mov_b32 s79, 0xff                                        // 000000002B78: BECF00FF 000000FF

0000000000002b80 <label_02E0>:
	s_cmp_eq_u32 s79, 0                                        // 000000002B80: BF06804F
	s_cbranch_scc1 label_0362                                  // 000000002B84: BF850080
	s_mov_b32 s7, 0                                            // 000000002B88: BE870080

0000000000002b8c <label_02E3>:
	s_nop 15                                                   // 000000002B8C: BF80000F
	s_addk_i32 s7, 0x1                                         // 000000002B90: B7070001
	s_cmp_lt_i32 s7, s6                                        // 000000002B94: BF040607
	s_cbranch_scc0 label_02E8                                  // 000000002B98: BF840001
	s_branch label_02E3                                        // 000000002B9C: BF82FFFB

0000000000002ba0 <label_02E8>:
	s_lshl_b32 s82, s80, 0                                     // 000000002BA0: 8E528050
	s_nor_b32 s83, s82, 0                                      // 000000002BA4: 8C538052
	s_and_b32 s84, s82, s79                                    // 000000002BA8: 86544F52
	s_cmp_eq_u32 s84, 0                                        // 000000002BAC: BF068054
	s_cbranch_scc1 label_02F2                                  // 000000002BB0: BF850005
	s_mul_i32 s82, s85, 0                                      // 000000002BB4: 92528055
	s_add_i32 s83, s87, s82                                    // 000000002BB8: 81535257
	s_add_i32 s83, s83, 4                                      // 000000002BBC: 81538453
	s_load_dword s70, s[56:57], s83 glc                        // 000000002BC0: C001119C 00000053

0000000000002bc8 <label_02F2>:
	s_lshl_b32 s82, s80, 1                                     // 000000002BC8: 8E528150
	s_nor_b32 s83, s82, 0                                      // 000000002BCC: 8C538052
	s_and_b32 s84, s82, s79                                    // 000000002BD0: 86544F52
	s_cmp_eq_u32 s84, 0                                        // 000000002BD4: BF068054
	s_cbranch_scc1 label_02FC                                  // 000000002BD8: BF850005
	s_mul_i32 s82, s85, 1                                      // 000000002BDC: 92528155
	s_add_i32 s83, s87, s82                                    // 000000002BE0: 81535257
	s_add_i32 s83, s83, 4                                      // 000000002BE4: 81538453
	s_load_dword s71, s[56:57], s83 glc                        // 000000002BE8: C00111DC 00000053

0000000000002bf0 <label_02FC>:
	s_lshl_b32 s82, s80, 2                                     // 000000002BF0: 8E528250
	s_nor_b32 s83, s82, 0                                      // 000000002BF4: 8C538052
	s_and_b32 s84, s82, s79                                    // 000000002BF8: 86544F52
	s_cmp_eq_u32 s84, 0                                        // 000000002BFC: BF068054
	s_cbranch_scc1 label_0306                                  // 000000002C00: BF850005
	s_mul_i32 s82, s85, 2                                      // 000000002C04: 92528255
	s_add_i32 s83, s87, s82                                    // 000000002C08: 81535257
	s_add_i32 s83, s83, 4                                      // 000000002C0C: 81538453
	s_load_dword s72, s[56:57], s83 glc                        // 000000002C10: C001121C 00000053

0000000000002c18 <label_0306>:
	s_lshl_b32 s82, s80, 3                                     // 000000002C18: 8E528350
	s_nor_b32 s83, s82, 0                                      // 000000002C1C: 8C538052
	s_and_b32 s84, s82, s79                                    // 000000002C20: 86544F52
	s_cmp_eq_u32 s84, 0                                        // 000000002C24: BF068054
	s_cbranch_scc1 label_0310                                  // 000000002C28: BF850005
	s_mul_i32 s82, s85, 3                                      // 000000002C2C: 92528355
	s_add_i32 s83, s87, s82                                    // 000000002C30: 81535257
	s_add_i32 s83, s83, 4                                      // 000000002C34: 81538453
	s_load_dword s73, s[56:57], s83 glc                        // 000000002C38: C001125C 00000053

0000000000002c40 <label_0310>:
	s_lshl_b32 s82, s80, 4                                     // 000000002C40: 8E528450
	s_nor_b32 s83, s82, 0                                      // 000000002C44: 8C538052
	s_and_b32 s84, s82, s79                                    // 000000002C48: 86544F52
	s_cmp_eq_u32 s84, 0                                        // 000000002C4C: BF068054
	s_cbranch_scc1 label_031A                                  // 000000002C50: BF850005
	s_mul_i32 s82, s85, 4                                      // 000000002C54: 92528455
	s_add_i32 s83, s87, s82                                    // 000000002C58: 81535257
	s_add_i32 s83, s83, 4                                      // 000000002C5C: 81538453
	s_load_dword s74, s[56:57], s83 glc                        // 000000002C60: C001129C 00000053

0000000000002c68 <label_031A>:
	s_lshl_b32 s82, s80, 5                                     // 000000002C68: 8E528550
	s_nor_b32 s83, s82, 0                                      // 000000002C6C: 8C538052
	s_and_b32 s84, s82, s79                                    // 000000002C70: 86544F52
	s_cmp_eq_u32 s84, 0                                        // 000000002C74: BF068054
	s_cbranch_scc1 label_0324                                  // 000000002C78: BF850005
	s_mul_i32 s82, s85, 5                                      // 000000002C7C: 92528555
	s_add_i32 s83, s87, s82                                    // 000000002C80: 81535257
	s_add_i32 s83, s83, 4                                      // 000000002C84: 81538453
	s_load_dword s75, s[56:57], s83 glc                        // 000000002C88: C00112DC 00000053

0000000000002c90 <label_0324>:
	s_lshl_b32 s82, s80, 6                                     // 000000002C90: 8E528650
	s_nor_b32 s83, s82, 0                                      // 000000002C94: 8C538052
	s_and_b32 s84, s82, s79                                    // 000000002C98: 86544F52
	s_cmp_eq_u32 s84, 0                                        // 000000002C9C: BF068054
	s_cbranch_scc1 label_032E                                  // 000000002CA0: BF850005
	s_mul_i32 s82, s85, 6                                      // 000000002CA4: 92528655
	s_add_i32 s83, s87, s82                                    // 000000002CA8: 81535257
	s_add_i32 s83, s83, 4                                      // 000000002CAC: 81538453
	s_load_dword s76, s[56:57], s83 glc                        // 000000002CB0: C001131C 00000053

0000000000002cb8 <label_032E>:
	s_lshl_b32 s82, s80, 7                                     // 000000002CB8: 8E528750
	s_nor_b32 s83, s82, 0                                      // 000000002CBC: 8C538052
	s_and_b32 s84, s82, s79                                    // 000000002CC0: 86544F52
	s_cmp_eq_u32 s84, 0                                        // 000000002CC4: BF068054
	s_cbranch_scc1 label_0338                                  // 000000002CC8: BF850005
	s_mul_i32 s82, s85, 7                                      // 000000002CCC: 92528755
	s_add_i32 s83, s87, s82                                    // 000000002CD0: 81535257
	s_add_i32 s83, s83, 4                                      // 000000002CD4: 81538453
	s_load_dword s77, s[56:57], s83 glc                        // 000000002CD8: C001135C 00000053

0000000000002ce0 <label_0338>:
	s_waitcnt lgkmcnt(0)                                       // 000000002CE0: BF8CC07F
	s_lshl_b32 s82, s80, 0                                     // 000000002CE4: 8E528050
	s_nor_b32 s83, s82, 0                                      // 000000002CE8: 8C538052
	s_cmp_eq_u32 s70, 4                                        // 000000002CEC: BF068446
	s_cbranch_scc0 label_033E                                  // 000000002CF0: BF840001
	s_and_b32 s79, s83, s79                                    // 000000002CF4: 864F4F53

0000000000002cf8 <label_033E>:
	s_lshl_b32 s82, s80, 1                                     // 000000002CF8: 8E528150
	s_nor_b32 s83, s82, 0                                      // 000000002CFC: 8C538052
	s_cmp_eq_u32 s71, 4                                        // 000000002D00: BF068447
	s_cbranch_scc0 label_0343                                  // 000000002D04: BF840001
	s_and_b32 s79, s83, s79                                    // 000000002D08: 864F4F53

0000000000002d0c <label_0343>:
	s_lshl_b32 s82, s80, 2                                     // 000000002D0C: 8E528250
	s_nor_b32 s83, s82, 0                                      // 000000002D10: 8C538052
	s_cmp_eq_u32 s72, 4                                        // 000000002D14: BF068448
	s_cbranch_scc0 label_0348                                  // 000000002D18: BF840001
	s_and_b32 s79, s83, s79                                    // 000000002D1C: 864F4F53

0000000000002d20 <label_0348>:
	s_lshl_b32 s82, s80, 3                                     // 000000002D20: 8E528350
	s_nor_b32 s83, s82, 0                                      // 000000002D24: 8C538052
	s_cmp_eq_u32 s73, 4                                        // 000000002D28: BF068449
	s_cbranch_scc0 label_034D                                  // 000000002D2C: BF840001
	s_and_b32 s79, s83, s79                                    // 000000002D30: 864F4F53

0000000000002d34 <label_034D>:
	s_lshl_b32 s82, s80, 4                                     // 000000002D34: 8E528450
	s_nor_b32 s83, s82, 0                                      // 000000002D38: 8C538052
	s_cmp_eq_u32 s74, 4                                        // 000000002D3C: BF06844A
	s_cbranch_scc0 label_0352                                  // 000000002D40: BF840001
	s_and_b32 s79, s83, s79                                    // 000000002D44: 864F4F53

0000000000002d48 <label_0352>:
	s_lshl_b32 s82, s80, 5                                     // 000000002D48: 8E528550
	s_nor_b32 s83, s82, 0                                      // 000000002D4C: 8C538052
	s_cmp_eq_u32 s75, 4                                        // 000000002D50: BF06844B
	s_cbranch_scc0 label_0357                                  // 000000002D54: BF840001
	s_and_b32 s79, s83, s79                                    // 000000002D58: 864F4F53

0000000000002d5c <label_0357>:
	s_lshl_b32 s82, s80, 6                                     // 000000002D5C: 8E528650
	s_nor_b32 s83, s82, 0                                      // 000000002D60: 8C538052
	s_cmp_eq_u32 s76, 4                                        // 000000002D64: BF06844C
	s_cbranch_scc0 label_035C                                  // 000000002D68: BF840001
	s_and_b32 s79, s83, s79                                    // 000000002D6C: 864F4F53

0000000000002d70 <label_035C>:
	s_lshl_b32 s82, s80, 7                                     // 000000002D70: 8E528750
	s_nor_b32 s83, s82, 0                                      // 000000002D74: 8C538052
	s_cmp_eq_u32 s77, 4                                        // 000000002D78: BF06844D
	s_cbranch_scc0 label_0361                                  // 000000002D7C: BF840001
	s_and_b32 s79, s83, s79                                    // 000000002D80: 864F4F53

0000000000002d84 <label_0361>:
	s_branch label_02E0                                        // 000000002D84: BF82FF7E

0000000000002d88 <label_0362>:
	s_cmp_eq_u32 s5, 0                                         // 000000002D88: BF068005
	s_cbranch_scc0 label_0386                                  // 000000002D8C: BF840022
	s_cmp_eq_u32 s2, 0                                         // 000000002D90: BF068002
	s_cbranch_scc0 label_0386                                  // 000000002D94: BF840020
	s_mul_i32 s84, s85, 0                                      // 000000002D98: 92548055
	s_mov_b32 s82, 0                                           // 000000002D9C: BED20080
	s_store_dword s82, s[56:57], s84 glc                       // 000000002DA0: C041149C 00000054
	s_mul_i32 s84, s85, 1                                      // 000000002DA8: 92548155
	s_mov_b32 s82, 0                                           // 000000002DAC: BED20080
	s_store_dword s82, s[56:57], s84 glc                       // 000000002DB0: C041149C 00000054
	s_mul_i32 s84, s85, 2                                      // 000000002DB8: 92548255
	s_mov_b32 s82, 0                                           // 000000002DBC: BED20080
	s_store_dword s82, s[56:57], s84 glc                       // 000000002DC0: C041149C 00000054
	s_mul_i32 s84, s85, 3                                      // 000000002DC8: 92548355
	s_mov_b32 s82, 0                                           // 000000002DCC: BED20080
	s_store_dword s82, s[56:57], s84 glc                       // 000000002DD0: C041149C 00000054
	s_mul_i32 s84, s85, 4                                      // 000000002DD8: 92548455
	s_mov_b32 s82, 0                                           // 000000002DDC: BED20080
	s_store_dword s82, s[56:57], s84 glc                       // 000000002DE0: C041149C 00000054
	s_mul_i32 s84, s85, 5                                      // 000000002DE8: 92548555
	s_mov_b32 s82, 0                                           // 000000002DEC: BED20080
	s_store_dword s82, s[56:57], s84 glc                       // 000000002DF0: C041149C 00000054
	s_mul_i32 s84, s85, 6                                      // 000000002DF8: 92548655
	s_mov_b32 s82, 0                                           // 000000002DFC: BED20080
	s_store_dword s82, s[56:57], s84 glc                       // 000000002E00: C041149C 00000054
	s_mul_i32 s84, s85, 7                                      // 000000002E08: 92548755
	s_mov_b32 s82, 0                                           // 000000002E0C: BED20080
	s_store_dword s82, s[56:57], s84 glc                       // 000000002E10: C041149C 00000054

0000000000002e18 <label_0386>:
	s_barrier                                                  // 000000002E18: BF8A0000
	s_cmp_eq_u32 s5, 0                                         // 000000002E1C: BF068005
	s_cbranch_scc0 label_03C1                                  // 000000002E20: BF840038
	s_mul_i32 s82, s85, 0                                      // 000000002E24: 92528055
	s_add_i32 s84, s87, s82                                    // 000000002E28: 81545257
	s_mov_b32 s82, 0                                           // 000000002E2C: BED20080
	s_mov_b32 s83, 0                                           // 000000002E30: BED30080
	s_add_i32 s84, s84, 4                                      // 000000002E34: 81548454
	s_store_dword s82, s[56:57], s84 glc                       // 000000002E38: C041149C 00000054
	s_mul_i32 s82, s85, 1                                      // 000000002E40: 92528155
	s_add_i32 s84, s87, s82                                    // 000000002E44: 81545257
	s_mov_b32 s82, 0                                           // 000000002E48: BED20080
	s_mov_b32 s83, 0                                           // 000000002E4C: BED30080
	s_add_i32 s84, s84, 4                                      // 000000002E50: 81548454
	s_store_dword s82, s[56:57], s84 glc                       // 000000002E54: C041149C 00000054
	s_mul_i32 s82, s85, 2                                      // 000000002E5C: 92528255
	s_add_i32 s84, s87, s82                                    // 000000002E60: 81545257
	s_mov_b32 s82, 0                                           // 000000002E64: BED20080
	s_mov_b32 s83, 0                                           // 000000002E68: BED30080
	s_add_i32 s84, s84, 4                                      // 000000002E6C: 81548454
	s_store_dword s82, s[56:57], s84 glc                       // 000000002E70: C041149C 00000054
	s_mul_i32 s82, s85, 3                                      // 000000002E78: 92528355
	s_add_i32 s84, s87, s82                                    // 000000002E7C: 81545257
	s_mov_b32 s82, 0                                           // 000000002E80: BED20080
	s_mov_b32 s83, 0                                           // 000000002E84: BED30080
	s_add_i32 s84, s84, 4                                      // 000000002E88: 81548454
	s_store_dword s82, s[56:57], s84 glc                       // 000000002E8C: C041149C 00000054
	s_mul_i32 s82, s85, 4                                      // 000000002E94: 92528455
	s_add_i32 s84, s87, s82                                    // 000000002E98: 81545257
	s_mov_b32 s82, 0                                           // 000000002E9C: BED20080
	s_mov_b32 s83, 0                                           // 000000002EA0: BED30080
	s_add_i32 s84, s84, 4                                      // 000000002EA4: 81548454
	s_store_dword s82, s[56:57], s84 glc                       // 000000002EA8: C041149C 00000054
	s_mul_i32 s82, s85, 5                                      // 000000002EB0: 92528555
	s_add_i32 s84, s87, s82                                    // 000000002EB4: 81545257
	s_mov_b32 s82, 0                                           // 000000002EB8: BED20080
	s_mov_b32 s83, 0                                           // 000000002EBC: BED30080
	s_add_i32 s84, s84, 4                                      // 000000002EC0: 81548454
	s_store_dword s82, s[56:57], s84 glc                       // 000000002EC4: C041149C 00000054
	s_mul_i32 s82, s85, 6                                      // 000000002ECC: 92528655
	s_add_i32 s84, s87, s82                                    // 000000002ED0: 81545257
	s_mov_b32 s82, 0                                           // 000000002ED4: BED20080
	s_mov_b32 s83, 0                                           // 000000002ED8: BED30080
	s_add_i32 s84, s84, 4                                      // 000000002EDC: 81548454
	s_store_dword s82, s[56:57], s84 glc                       // 000000002EE0: C041149C 00000054
	s_mul_i32 s82, s85, 7                                      // 000000002EE8: 92528755
	s_add_i32 s84, s87, s82                                    // 000000002EEC: 81545257
	s_mov_b32 s82, 0                                           // 000000002EF0: BED20080
	s_mov_b32 s83, 0                                           // 000000002EF4: BED30080
	s_add_i32 s84, s84, 4                                      // 000000002EF8: 81548454
	s_store_dword s82, s[56:57], s84 glc                       // 000000002EFC: C041149C 00000054

0000000000002f04 <label_03C1>:
	s_waitcnt vmcnt(0) expcnt(0) lgkmcnt(0)                    // 000000002F04: BF8C0000
	s_endpgm                                                   // 000000002F08: BF810000
